;; amdgpu-corpus repo=ROCm/rocFFT kind=compiled arch=gfx1030 opt=O3
	.text
	.amdgcn_target "amdgcn-amd-amdhsa--gfx1030"
	.amdhsa_code_object_version 6
	.protected	fft_rtc_back_len420_factors_10_7_6_wgs_60_tpt_60_dp_op_CI_CI_unitstride_sbrr_C2R_dirReg ; -- Begin function fft_rtc_back_len420_factors_10_7_6_wgs_60_tpt_60_dp_op_CI_CI_unitstride_sbrr_C2R_dirReg
	.globl	fft_rtc_back_len420_factors_10_7_6_wgs_60_tpt_60_dp_op_CI_CI_unitstride_sbrr_C2R_dirReg
	.p2align	8
	.type	fft_rtc_back_len420_factors_10_7_6_wgs_60_tpt_60_dp_op_CI_CI_unitstride_sbrr_C2R_dirReg,@function
fft_rtc_back_len420_factors_10_7_6_wgs_60_tpt_60_dp_op_CI_CI_unitstride_sbrr_C2R_dirReg: ; @fft_rtc_back_len420_factors_10_7_6_wgs_60_tpt_60_dp_op_CI_CI_unitstride_sbrr_C2R_dirReg
; %bb.0:
	s_clause 0x2
	s_load_dwordx4 s[12:15], s[4:5], 0x0
	s_load_dwordx4 s[8:11], s[4:5], 0x58
	;; [unrolled: 1-line block ×3, first 2 shown]
	v_mul_u32_u24_e32 v1, 0x445, v0
	v_mov_b32_e32 v3, 0
	v_add_nc_u32_sdwa v5, s6, v1 dst_sel:DWORD dst_unused:UNUSED_PAD src0_sel:DWORD src1_sel:WORD_1
	v_mov_b32_e32 v1, 0
	v_mov_b32_e32 v6, v3
	v_mov_b32_e32 v2, 0
	s_waitcnt lgkmcnt(0)
	v_cmp_lt_u64_e64 s0, s[14:15], 2
	s_and_b32 vcc_lo, exec_lo, s0
	s_cbranch_vccnz .LBB0_8
; %bb.1:
	s_load_dwordx2 s[0:1], s[4:5], 0x10
	v_mov_b32_e32 v1, 0
	v_mov_b32_e32 v2, 0
	s_add_u32 s2, s18, 8
	s_addc_u32 s3, s19, 0
	s_add_u32 s6, s16, 8
	s_addc_u32 s7, s17, 0
	v_mov_b32_e32 v53, v2
	v_mov_b32_e32 v52, v1
	s_mov_b64 s[22:23], 1
	s_waitcnt lgkmcnt(0)
	s_add_u32 s20, s0, 8
	s_addc_u32 s21, s1, 0
.LBB0_2:                                ; =>This Inner Loop Header: Depth=1
	s_load_dwordx2 s[24:25], s[20:21], 0x0
                                        ; implicit-def: $vgpr54_vgpr55
	s_mov_b32 s0, exec_lo
	s_waitcnt lgkmcnt(0)
	v_or_b32_e32 v4, s25, v6
	v_cmpx_ne_u64_e32 0, v[3:4]
	s_xor_b32 s1, exec_lo, s0
	s_cbranch_execz .LBB0_4
; %bb.3:                                ;   in Loop: Header=BB0_2 Depth=1
	v_cvt_f32_u32_e32 v4, s24
	v_cvt_f32_u32_e32 v7, s25
	s_sub_u32 s0, 0, s24
	s_subb_u32 s26, 0, s25
	v_fmac_f32_e32 v4, 0x4f800000, v7
	v_rcp_f32_e32 v4, v4
	v_mul_f32_e32 v4, 0x5f7ffffc, v4
	v_mul_f32_e32 v7, 0x2f800000, v4
	v_trunc_f32_e32 v7, v7
	v_fmac_f32_e32 v4, 0xcf800000, v7
	v_cvt_u32_f32_e32 v7, v7
	v_cvt_u32_f32_e32 v4, v4
	v_mul_lo_u32 v8, s0, v7
	v_mul_hi_u32 v9, s0, v4
	v_mul_lo_u32 v10, s26, v4
	v_add_nc_u32_e32 v8, v9, v8
	v_mul_lo_u32 v9, s0, v4
	v_add_nc_u32_e32 v8, v8, v10
	v_mul_hi_u32 v10, v4, v9
	v_mul_lo_u32 v11, v4, v8
	v_mul_hi_u32 v12, v4, v8
	v_mul_hi_u32 v13, v7, v9
	v_mul_lo_u32 v9, v7, v9
	v_mul_hi_u32 v14, v7, v8
	v_mul_lo_u32 v8, v7, v8
	v_add_co_u32 v10, vcc_lo, v10, v11
	v_add_co_ci_u32_e32 v11, vcc_lo, 0, v12, vcc_lo
	v_add_co_u32 v9, vcc_lo, v10, v9
	v_add_co_ci_u32_e32 v9, vcc_lo, v11, v13, vcc_lo
	v_add_co_ci_u32_e32 v10, vcc_lo, 0, v14, vcc_lo
	v_add_co_u32 v8, vcc_lo, v9, v8
	v_add_co_ci_u32_e32 v9, vcc_lo, 0, v10, vcc_lo
	v_add_co_u32 v4, vcc_lo, v4, v8
	v_add_co_ci_u32_e32 v7, vcc_lo, v7, v9, vcc_lo
	v_mul_hi_u32 v8, s0, v4
	v_mul_lo_u32 v10, s26, v4
	v_mul_lo_u32 v9, s0, v7
	v_add_nc_u32_e32 v8, v8, v9
	v_mul_lo_u32 v9, s0, v4
	v_add_nc_u32_e32 v8, v8, v10
	v_mul_hi_u32 v10, v4, v9
	v_mul_lo_u32 v11, v4, v8
	v_mul_hi_u32 v12, v4, v8
	v_mul_hi_u32 v13, v7, v9
	v_mul_lo_u32 v9, v7, v9
	v_mul_hi_u32 v14, v7, v8
	v_mul_lo_u32 v8, v7, v8
	v_add_co_u32 v10, vcc_lo, v10, v11
	v_add_co_ci_u32_e32 v11, vcc_lo, 0, v12, vcc_lo
	v_add_co_u32 v9, vcc_lo, v10, v9
	v_add_co_ci_u32_e32 v9, vcc_lo, v11, v13, vcc_lo
	v_add_co_ci_u32_e32 v10, vcc_lo, 0, v14, vcc_lo
	v_add_co_u32 v8, vcc_lo, v9, v8
	v_add_co_ci_u32_e32 v9, vcc_lo, 0, v10, vcc_lo
	v_add_co_u32 v4, vcc_lo, v4, v8
	v_add_co_ci_u32_e32 v11, vcc_lo, v7, v9, vcc_lo
	v_mul_hi_u32 v13, v5, v4
	v_mad_u64_u32 v[9:10], null, v6, v4, 0
	v_mad_u64_u32 v[7:8], null, v5, v11, 0
	;; [unrolled: 1-line block ×3, first 2 shown]
	v_add_co_u32 v4, vcc_lo, v13, v7
	v_add_co_ci_u32_e32 v7, vcc_lo, 0, v8, vcc_lo
	v_add_co_u32 v4, vcc_lo, v4, v9
	v_add_co_ci_u32_e32 v4, vcc_lo, v7, v10, vcc_lo
	v_add_co_ci_u32_e32 v7, vcc_lo, 0, v12, vcc_lo
	v_add_co_u32 v4, vcc_lo, v4, v11
	v_add_co_ci_u32_e32 v9, vcc_lo, 0, v7, vcc_lo
	v_mul_lo_u32 v10, s25, v4
	v_mad_u64_u32 v[7:8], null, s24, v4, 0
	v_mul_lo_u32 v11, s24, v9
	v_sub_co_u32 v7, vcc_lo, v5, v7
	v_add3_u32 v8, v8, v11, v10
	v_sub_nc_u32_e32 v10, v6, v8
	v_subrev_co_ci_u32_e64 v10, s0, s25, v10, vcc_lo
	v_add_co_u32 v11, s0, v4, 2
	v_add_co_ci_u32_e64 v12, s0, 0, v9, s0
	v_sub_co_u32 v13, s0, v7, s24
	v_sub_co_ci_u32_e32 v8, vcc_lo, v6, v8, vcc_lo
	v_subrev_co_ci_u32_e64 v10, s0, 0, v10, s0
	v_cmp_le_u32_e32 vcc_lo, s24, v13
	v_cmp_eq_u32_e64 s0, s25, v8
	v_cndmask_b32_e64 v13, 0, -1, vcc_lo
	v_cmp_le_u32_e32 vcc_lo, s25, v10
	v_cndmask_b32_e64 v14, 0, -1, vcc_lo
	v_cmp_le_u32_e32 vcc_lo, s24, v7
	;; [unrolled: 2-line block ×3, first 2 shown]
	v_cndmask_b32_e64 v15, 0, -1, vcc_lo
	v_cmp_eq_u32_e32 vcc_lo, s25, v10
	v_cndmask_b32_e64 v7, v15, v7, s0
	v_cndmask_b32_e32 v10, v14, v13, vcc_lo
	v_add_co_u32 v13, vcc_lo, v4, 1
	v_add_co_ci_u32_e32 v14, vcc_lo, 0, v9, vcc_lo
	v_cmp_ne_u32_e32 vcc_lo, 0, v10
	v_cndmask_b32_e32 v8, v14, v12, vcc_lo
	v_cndmask_b32_e32 v10, v13, v11, vcc_lo
	v_cmp_ne_u32_e32 vcc_lo, 0, v7
	v_cndmask_b32_e32 v55, v9, v8, vcc_lo
	v_cndmask_b32_e32 v54, v4, v10, vcc_lo
.LBB0_4:                                ;   in Loop: Header=BB0_2 Depth=1
	s_andn2_saveexec_b32 s0, s1
	s_cbranch_execz .LBB0_6
; %bb.5:                                ;   in Loop: Header=BB0_2 Depth=1
	v_cvt_f32_u32_e32 v4, s24
	s_sub_i32 s1, 0, s24
	v_mov_b32_e32 v55, v3
	v_rcp_iflag_f32_e32 v4, v4
	v_mul_f32_e32 v4, 0x4f7ffffe, v4
	v_cvt_u32_f32_e32 v4, v4
	v_mul_lo_u32 v7, s1, v4
	v_mul_hi_u32 v7, v4, v7
	v_add_nc_u32_e32 v4, v4, v7
	v_mul_hi_u32 v4, v5, v4
	v_mul_lo_u32 v7, v4, s24
	v_add_nc_u32_e32 v8, 1, v4
	v_sub_nc_u32_e32 v7, v5, v7
	v_subrev_nc_u32_e32 v9, s24, v7
	v_cmp_le_u32_e32 vcc_lo, s24, v7
	v_cndmask_b32_e32 v7, v7, v9, vcc_lo
	v_cndmask_b32_e32 v4, v4, v8, vcc_lo
	v_cmp_le_u32_e32 vcc_lo, s24, v7
	v_add_nc_u32_e32 v8, 1, v4
	v_cndmask_b32_e32 v54, v4, v8, vcc_lo
.LBB0_6:                                ;   in Loop: Header=BB0_2 Depth=1
	s_or_b32 exec_lo, exec_lo, s0
	v_mul_lo_u32 v4, v55, s24
	v_mul_lo_u32 v9, v54, s25
	s_load_dwordx2 s[0:1], s[6:7], 0x0
	v_mad_u64_u32 v[7:8], null, v54, s24, 0
	s_load_dwordx2 s[24:25], s[2:3], 0x0
	s_add_u32 s22, s22, 1
	s_addc_u32 s23, s23, 0
	s_add_u32 s2, s2, 8
	s_addc_u32 s3, s3, 0
	s_add_u32 s6, s6, 8
	v_add3_u32 v4, v8, v9, v4
	v_sub_co_u32 v5, vcc_lo, v5, v7
	s_addc_u32 s7, s7, 0
	s_add_u32 s20, s20, 8
	v_sub_co_ci_u32_e32 v4, vcc_lo, v6, v4, vcc_lo
	s_addc_u32 s21, s21, 0
	s_waitcnt lgkmcnt(0)
	v_mul_lo_u32 v6, s0, v4
	v_mul_lo_u32 v7, s1, v5
	v_mad_u64_u32 v[1:2], null, s0, v5, v[1:2]
	v_mul_lo_u32 v4, s24, v4
	v_mul_lo_u32 v8, s25, v5
	v_mad_u64_u32 v[52:53], null, s24, v5, v[52:53]
	v_cmp_ge_u64_e64 s0, s[22:23], s[14:15]
	v_add3_u32 v2, v7, v2, v6
	v_add3_u32 v53, v8, v53, v4
	s_and_b32 vcc_lo, exec_lo, s0
	s_cbranch_vccnz .LBB0_9
; %bb.7:                                ;   in Loop: Header=BB0_2 Depth=1
	v_mov_b32_e32 v5, v54
	v_mov_b32_e32 v6, v55
	s_branch .LBB0_2
.LBB0_8:
	v_mov_b32_e32 v53, v2
	v_mov_b32_e32 v55, v6
	;; [unrolled: 1-line block ×4, first 2 shown]
.LBB0_9:
	s_load_dwordx2 s[0:1], s[4:5], 0x28
	v_mul_hi_u32 v3, 0x4444445, v0
	s_lshl_b64 s[4:5], s[14:15], 3
                                        ; implicit-def: $vgpr56
	s_add_u32 s2, s18, s4
	s_addc_u32 s3, s19, s5
	s_waitcnt lgkmcnt(0)
	v_cmp_gt_u64_e32 vcc_lo, s[0:1], v[54:55]
	v_cmp_le_u64_e64 s0, s[0:1], v[54:55]
	s_and_saveexec_b32 s1, s0
	s_xor_b32 s0, exec_lo, s1
; %bb.10:
	v_mul_u32_u24_e32 v1, 60, v3
                                        ; implicit-def: $vgpr3
	v_sub_nc_u32_e32 v56, v0, v1
                                        ; implicit-def: $vgpr0
                                        ; implicit-def: $vgpr1_vgpr2
; %bb.11:
	s_or_saveexec_b32 s1, s0
	s_load_dwordx2 s[2:3], s[2:3], 0x0
	s_xor_b32 exec_lo, exec_lo, s1
	s_cbranch_execz .LBB0_15
; %bb.12:
	s_add_u32 s4, s16, s4
	s_addc_u32 s5, s17, s5
	v_lshlrev_b64 v[1:2], 4, v[1:2]
	s_load_dwordx2 s[4:5], s[4:5], 0x0
	s_waitcnt lgkmcnt(0)
	v_mul_lo_u32 v6, s5, v54
	v_mul_lo_u32 v7, s4, v55
	v_mad_u64_u32 v[4:5], null, s4, v54, 0
	s_mov_b32 s4, exec_lo
	v_add3_u32 v5, v5, v7, v6
	v_mul_u32_u24_e32 v6, 60, v3
	v_lshlrev_b64 v[3:4], 4, v[4:5]
	v_sub_nc_u32_e32 v56, v0, v6
	v_lshlrev_b32_e32 v30, 4, v56
	v_add_co_u32 v0, s0, s8, v3
	v_add_co_ci_u32_e64 v3, s0, s9, v4, s0
	v_add_co_u32 v0, s0, v0, v1
	v_add_co_ci_u32_e64 v1, s0, v3, v2, s0
	;; [unrolled: 2-line block ×3, first 2 shown]
	v_add_nc_u32_e32 v30, 0, v30
	v_add_co_u32 v18, s0, 0x800, v10
	v_add_co_ci_u32_e64 v19, s0, 0, v11, s0
	v_add_co_u32 v26, s0, 0x1000, v10
	v_add_co_ci_u32_e64 v27, s0, 0, v11, s0
	s_clause 0x6
	global_load_dwordx4 v[2:5], v[10:11], off
	global_load_dwordx4 v[6:9], v[10:11], off offset:960
	global_load_dwordx4 v[10:13], v[10:11], off offset:1920
	;; [unrolled: 1-line block ×6, first 2 shown]
	s_waitcnt vmcnt(6)
	ds_write_b128 v30, v[2:5]
	s_waitcnt vmcnt(5)
	ds_write_b128 v30, v[6:9] offset:960
	s_waitcnt vmcnt(4)
	ds_write_b128 v30, v[10:13] offset:1920
	;; [unrolled: 2-line block ×6, first 2 shown]
	v_cmpx_eq_u32_e32 59, v56
	s_cbranch_execz .LBB0_14
; %bb.13:
	v_add_co_u32 v0, s0, 0x1800, v0
	v_add_co_ci_u32_e64 v1, s0, 0, v1, s0
	v_mov_b32_e32 v4, 0
	v_mov_b32_e32 v56, 59
	global_load_dwordx4 v[0:3], v[0:1], off offset:576
	s_waitcnt vmcnt(0)
	ds_write_b128 v4, v[0:3] offset:6720
.LBB0_14:
	s_or_b32 exec_lo, exec_lo, s4
.LBB0_15:
	s_or_b32 exec_lo, exec_lo, s1
	v_lshlrev_b32_e32 v0, 4, v56
	s_waitcnt lgkmcnt(0)
	s_barrier
	buffer_gl0_inv
	s_add_u32 s1, s12, 0x19a0
	v_add_nc_u32_e32 v113, 0, v0
	v_sub_nc_u32_e32 v10, 0, v0
	s_addc_u32 s4, s13, 0
	s_mov_b32 s5, exec_lo
                                        ; implicit-def: $vgpr4_vgpr5
	ds_read_b64 v[6:7], v113
	ds_read_b64 v[8:9], v10 offset:6720
	s_waitcnt lgkmcnt(0)
	v_add_f64 v[0:1], v[6:7], v[8:9]
	v_add_f64 v[2:3], v[6:7], -v[8:9]
	v_cmpx_ne_u32_e32 0, v56
	s_xor_b32 s5, exec_lo, s5
	s_cbranch_execz .LBB0_17
; %bb.16:
	v_mov_b32_e32 v57, 0
	v_add_f64 v[13:14], v[6:7], v[8:9]
	v_add_f64 v[15:16], v[6:7], -v[8:9]
	v_lshlrev_b64 v[0:1], 4, v[56:57]
	v_add_co_u32 v0, s0, s1, v0
	v_add_co_ci_u32_e64 v1, s0, s4, v1, s0
	global_load_dwordx4 v[2:5], v[0:1], off
	ds_read_b64 v[0:1], v10 offset:6728
	ds_read_b64 v[11:12], v113 offset:8
	s_waitcnt lgkmcnt(0)
	v_add_f64 v[6:7], v[0:1], v[11:12]
	v_add_f64 v[0:1], v[11:12], -v[0:1]
	s_waitcnt vmcnt(0)
	v_fma_f64 v[8:9], v[15:16], v[4:5], v[13:14]
	v_fma_f64 v[11:12], -v[15:16], v[4:5], v[13:14]
	v_fma_f64 v[13:14], v[6:7], v[4:5], -v[0:1]
	v_fma_f64 v[4:5], v[6:7], v[4:5], v[0:1]
	v_fma_f64 v[0:1], -v[6:7], v[2:3], v[8:9]
	v_fma_f64 v[6:7], v[6:7], v[2:3], v[11:12]
	v_fma_f64 v[8:9], v[15:16], v[2:3], v[13:14]
	;; [unrolled: 1-line block ×3, first 2 shown]
	v_mov_b32_e32 v4, v56
	v_mov_b32_e32 v5, v57
	ds_write_b128 v10, v[6:9] offset:6720
.LBB0_17:
	s_andn2_saveexec_b32 s0, s5
	s_cbranch_execz .LBB0_19
; %bb.18:
	v_mov_b32_e32 v8, 0
	ds_read_b128 v[4:7], v8 offset:3360
	s_waitcnt lgkmcnt(0)
	v_add_f64 v[11:12], v[4:5], v[4:5]
	v_mul_f64 v[13:14], v[6:7], -2.0
	v_mov_b32_e32 v4, 0
	v_mov_b32_e32 v5, 0
	ds_write_b128 v8, v[11:14] offset:3360
.LBB0_19:
	s_or_b32 exec_lo, exec_lo, s0
	v_lshlrev_b64 v[4:5], 4, v[4:5]
	v_add_co_u32 v4, s0, s1, v4
	v_add_co_ci_u32_e64 v5, s0, s4, v5, s0
	s_mov_b32 s1, exec_lo
	s_clause 0x1
	global_load_dwordx4 v[6:9], v[4:5], off offset:960
	global_load_dwordx4 v[11:14], v[4:5], off offset:1920
	ds_write_b128 v113, v[0:3]
	ds_read_b128 v[0:3], v113 offset:960
	ds_read_b128 v[15:18], v10 offset:5760
	s_waitcnt lgkmcnt(0)
	v_add_f64 v[19:20], v[0:1], v[15:16]
	v_add_f64 v[21:22], v[17:18], v[2:3]
	v_add_f64 v[23:24], v[0:1], -v[15:16]
	v_add_f64 v[0:1], v[2:3], -v[17:18]
	s_waitcnt vmcnt(1)
	v_fma_f64 v[2:3], v[23:24], v[8:9], v[19:20]
	v_fma_f64 v[15:16], v[21:22], v[8:9], v[0:1]
	v_fma_f64 v[17:18], -v[23:24], v[8:9], v[19:20]
	v_fma_f64 v[8:9], v[21:22], v[8:9], -v[0:1]
	v_fma_f64 v[0:1], -v[21:22], v[6:7], v[2:3]
	v_fma_f64 v[2:3], v[23:24], v[6:7], v[15:16]
	v_fma_f64 v[15:16], v[21:22], v[6:7], v[17:18]
	;; [unrolled: 1-line block ×3, first 2 shown]
	ds_write_b128 v113, v[0:3] offset:960
	ds_write_b128 v10, v[15:18] offset:5760
	ds_read_b128 v[0:3], v113 offset:1920
	ds_read_b128 v[6:9], v10 offset:4800
	s_waitcnt lgkmcnt(0)
	v_add_f64 v[15:16], v[0:1], v[6:7]
	v_add_f64 v[17:18], v[8:9], v[2:3]
	v_add_f64 v[19:20], v[0:1], -v[6:7]
	v_add_f64 v[0:1], v[2:3], -v[8:9]
	s_waitcnt vmcnt(0)
	v_fma_f64 v[2:3], v[19:20], v[13:14], v[15:16]
	v_fma_f64 v[6:7], v[17:18], v[13:14], v[0:1]
	v_fma_f64 v[8:9], -v[19:20], v[13:14], v[15:16]
	v_fma_f64 v[13:14], v[17:18], v[13:14], -v[0:1]
	v_fma_f64 v[0:1], -v[17:18], v[11:12], v[2:3]
	v_fma_f64 v[2:3], v[19:20], v[11:12], v[6:7]
	v_fma_f64 v[6:7], v[17:18], v[11:12], v[8:9]
	;; [unrolled: 1-line block ×3, first 2 shown]
	ds_write_b128 v113, v[0:3] offset:1920
	ds_write_b128 v10, v[6:9] offset:4800
	v_cmpx_gt_u32_e32 30, v56
	s_cbranch_execz .LBB0_21
; %bb.20:
	v_add_co_u32 v0, s0, 0x800, v4
	v_add_co_ci_u32_e64 v1, s0, 0, v5, s0
	global_load_dwordx4 v[0:3], v[0:1], off offset:832
	ds_read_b128 v[4:7], v113 offset:2880
	ds_read_b128 v[11:14], v10 offset:3840
	s_waitcnt lgkmcnt(0)
	v_add_f64 v[8:9], v[4:5], v[11:12]
	v_add_f64 v[15:16], v[13:14], v[6:7]
	v_add_f64 v[11:12], v[4:5], -v[11:12]
	v_add_f64 v[4:5], v[6:7], -v[13:14]
	s_waitcnt vmcnt(0)
	v_fma_f64 v[6:7], v[11:12], v[2:3], v[8:9]
	v_fma_f64 v[13:14], v[15:16], v[2:3], v[4:5]
	v_fma_f64 v[8:9], -v[11:12], v[2:3], v[8:9]
	v_fma_f64 v[17:18], v[15:16], v[2:3], -v[4:5]
	v_fma_f64 v[2:3], -v[15:16], v[0:1], v[6:7]
	v_fma_f64 v[4:5], v[11:12], v[0:1], v[13:14]
	v_fma_f64 v[6:7], v[15:16], v[0:1], v[8:9]
	;; [unrolled: 1-line block ×3, first 2 shown]
	ds_write_b128 v113, v[2:5] offset:2880
	ds_write_b128 v10, v[6:9] offset:3840
.LBB0_21:
	s_or_b32 exec_lo, exec_lo, s1
	s_waitcnt lgkmcnt(0)
	s_barrier
	buffer_gl0_inv
	s_barrier
	buffer_gl0_inv
	ds_read_b128 v[12:15], v113 offset:6048
	ds_read_b128 v[20:23], v113 offset:2016
	;; [unrolled: 1-line block ×9, first 2 shown]
	s_mov_b32 s8, 0x134454ff
	s_mov_b32 s9, 0x3fee6f0e
	;; [unrolled: 1-line block ×4, first 2 shown]
	ds_read_b128 v[48:51], v113
	s_mov_b32 s4, 0x4755a5e
	s_mov_b32 s5, 0x3fe2cf23
	;; [unrolled: 1-line block ×9, first 2 shown]
	s_waitcnt lgkmcnt(8)
	v_add_f64 v[0:1], v[22:23], v[14:15]
	v_add_f64 v[4:5], v[20:21], v[12:13]
	s_waitcnt lgkmcnt(6)
	v_add_f64 v[2:3], v[18:19], v[30:31]
	v_add_f64 v[57:58], v[16:17], -v[28:29]
	v_add_f64 v[6:7], v[16:17], v[28:29]
	v_add_f64 v[61:62], v[20:21], -v[12:13]
	s_waitcnt lgkmcnt(4)
	v_add_f64 v[8:9], v[46:47], v[26:27]
	v_add_f64 v[10:11], v[18:19], -v[22:23]
	v_add_f64 v[67:68], v[30:31], -v[14:15]
	;; [unrolled: 1-line block ×3, first 2 shown]
	s_waitcnt lgkmcnt(1)
	v_add_f64 v[69:70], v[36:37], v[32:33]
	v_add_f64 v[75:76], v[38:39], v[34:35]
	v_add_f64 v[83:84], v[22:23], -v[14:15]
	v_add_f64 v[77:78], v[22:23], -v[18:19]
	;; [unrolled: 1-line block ×10, first 2 shown]
	v_fma_f64 v[0:1], v[0:1], -0.5, v[42:43]
	v_fma_f64 v[4:5], v[4:5], -0.5, v[40:41]
	v_fma_f64 v[59:60], v[2:3], -0.5, v[42:43]
	v_add_f64 v[2:3], v[44:45], v[24:25]
	v_fma_f64 v[79:80], v[6:7], -0.5, v[40:41]
	v_add_f64 v[73:74], v[44:45], -v[24:25]
	s_waitcnt lgkmcnt(0)
	v_fma_f64 v[8:9], v[8:9], -0.5, v[50:51]
	v_add_f64 v[89:90], v[44:45], -v[36:37]
	v_add_f64 v[10:11], v[10:11], v[67:68]
	v_add_f64 v[103:104], v[24:25], -v[32:33]
	v_fma_f64 v[67:68], v[69:70], -0.5, v[48:49]
	v_fma_f64 v[69:70], v[75:76], -0.5, v[50:51]
	v_add_f64 v[107:108], v[46:47], -v[38:39]
	v_add_f64 v[109:110], v[26:27], -v[34:35]
	v_add_f64 v[75:76], v[77:78], v[81:82]
	v_add_f64 v[81:82], v[36:37], -v[44:45]
	v_add_f64 v[111:112], v[38:39], -v[46:47]
	;; [unrolled: 1-line block ×3, first 2 shown]
	v_add_f64 v[87:88], v[87:88], v[91:92]
	v_add_f64 v[91:92], v[95:96], v[97:98]
	s_mov_b32 s18, s6
	v_fma_f64 v[6:7], v[57:58], s[16:17], v[0:1]
	v_fma_f64 v[0:1], v[57:58], s[8:9], v[0:1]
	v_fma_f64 v[85:86], v[61:62], s[16:17], v[59:60]
	v_fma_f64 v[2:3], v[2:3], -0.5, v[48:49]
	v_fma_f64 v[99:100], v[71:72], s[8:9], v[4:5]
	v_fma_f64 v[4:5], v[71:72], s[16:17], v[4:5]
	;; [unrolled: 1-line block ×5, first 2 shown]
	v_add_f64 v[105:106], v[89:90], v[103:104]
	v_fma_f64 v[116:117], v[93:94], s[8:9], v[67:68]
	v_fma_f64 v[118:119], v[73:74], s[16:17], v[69:70]
	s_barrier
	buffer_gl0_inv
	v_fma_f64 v[6:7], v[61:62], s[4:5], v[6:7]
	v_fma_f64 v[0:1], v[61:62], s[0:1], v[0:1]
	;; [unrolled: 1-line block ×3, first 2 shown]
	v_add_f64 v[85:86], v[32:33], -v[24:25]
	v_fma_f64 v[95:96], v[63:64], s[8:9], v[2:3]
	v_fma_f64 v[2:3], v[63:64], s[16:17], v[2:3]
	;; [unrolled: 1-line block ×5, first 2 shown]
	v_add_f64 v[99:100], v[107:108], v[109:110]
	v_fma_f64 v[89:90], v[73:74], s[4:5], v[97:98]
	v_fma_f64 v[8:9], v[73:74], s[0:1], v[8:9]
	;; [unrolled: 1-line block ×6, first 2 shown]
	v_add_f64 v[81:82], v[81:82], v[85:86]
	v_add_f64 v[85:86], v[111:112], v[114:115]
	v_fma_f64 v[77:78], v[93:94], s[0:1], v[95:96]
	v_fma_f64 v[2:3], v[93:94], s[4:5], v[2:3]
	;; [unrolled: 1-line block ×7, first 2 shown]
	v_mul_f64 v[91:92], v[6:7], s[16:17]
	v_mul_f64 v[6:7], v[6:7], s[6:7]
	;; [unrolled: 1-line block ×6, first 2 shown]
	v_fma_f64 v[77:78], v[81:82], s[6:7], v[77:78]
	v_fma_f64 v[81:82], v[81:82], s[6:7], v[2:3]
	;; [unrolled: 1-line block ×5, first 2 shown]
	s_mov_b32 s1, exec_lo
	v_fma_f64 v[85:86], v[109:110], s[6:7], v[91:92]
	v_fma_f64 v[103:104], v[109:110], s[8:9], v[6:7]
	;; [unrolled: 1-line block ×6, first 2 shown]
	v_add_f64 v[0:1], v[77:78], -v[85:86]
	v_add_f64 v[2:3], v[97:98], -v[103:104]
	;; [unrolled: 1-line block ×6, first 2 shown]
	v_cmpx_gt_u32_e32 42, v56
	s_cbranch_execz .LBB0_23
; %bb.22:
	v_mul_f64 v[83:84], v[83:84], s[8:9]
	v_mul_f64 v[61:62], v[61:62], s[8:9]
	;; [unrolled: 1-line block ×4, first 2 shown]
	v_add_f64 v[46:47], v[50:51], v[46:47]
	v_add_f64 v[22:23], v[42:43], v[22:23]
	;; [unrolled: 1-line block ×4, first 2 shown]
	v_mul_f64 v[40:41], v[73:74], s[8:9]
	v_mul_f64 v[44:45], v[87:88], s[6:7]
	;; [unrolled: 1-line block ×3, first 2 shown]
	s_mov_b32 s15, 0x3fe9e377
	v_add_f64 v[79:80], v[79:80], -v[83:84]
	v_add_f64 v[59:60], v[59:60], v[61:62]
	v_mul_f64 v[61:62], v[93:94], s[8:9]
	v_add_f64 v[38:39], v[46:47], v[38:39]
	v_add_f64 v[18:19], v[22:23], v[18:19]
	;; [unrolled: 1-line block ×4, first 2 shown]
	v_mul_f64 v[20:21], v[65:66], s[4:5]
	v_add_f64 v[36:37], v[69:70], v[40:41]
	v_mul_f64 v[46:47], v[105:106], s[6:7]
	v_add_f64 v[48:49], v[79:80], -v[71:72]
	v_add_f64 v[57:58], v[57:58], v[59:60]
	v_mul_f64 v[59:60], v[63:64], s[4:5]
	v_add_f64 v[42:43], v[67:68], -v[61:62]
	v_add_f64 v[34:35], v[38:39], v[34:35]
	v_add_f64 v[18:19], v[18:19], v[30:31]
	;; [unrolled: 1-line block ×4, first 2 shown]
	v_mul_f64 v[28:29], v[99:100], s[6:7]
	v_add_f64 v[20:21], v[20:21], v[36:37]
	v_add_f64 v[40:41], v[44:45], v[48:49]
	;; [unrolled: 1-line block ×3, first 2 shown]
	v_add_f64 v[32:33], v[42:43], -v[59:60]
	v_add_f64 v[34:35], v[34:35], v[26:27]
	v_add_f64 v[38:39], v[18:19], v[14:15]
	;; [unrolled: 1-line block ×11, first 2 shown]
	v_mul_f64 v[30:31], v[40:41], s[4:5]
	v_mul_f64 v[36:37], v[44:45], s[4:5]
	v_add_f64 v[32:33], v[46:47], v[32:33]
	v_add_f64 v[26:27], v[34:35], -v[38:39]
	v_add_f64 v[28:29], v[42:43], v[48:49]
	v_add_f64 v[24:25], v[42:43], -v[48:49]
	v_fma_f64 v[44:45], v[44:45], s[14:15], v[30:31]
	v_fma_f64 v[40:41], v[40:41], s[14:15], -v[36:37]
	v_add_f64 v[30:31], v[34:35], v[38:39]
	v_add_f64 v[38:39], v[50:51], v[44:45]
	;; [unrolled: 1-line block ×3, first 2 shown]
	v_add_f64 v[34:35], v[50:51], -v[44:45]
	v_add_f64 v[32:33], v[32:33], -v[40:41]
	v_mad_u32_u24 v40, 0x90, v56, v113
	ds_write_b128 v40, v[0:3] offset:112
	ds_write_b128 v40, v[4:7] offset:128
	;; [unrolled: 1-line block ×5, first 2 shown]
	ds_write_b128 v40, v[28:31]
	ds_write_b128 v40, v[24:27] offset:80
	ds_write_b128 v40, v[36:39] offset:16
	;; [unrolled: 1-line block ×4, first 2 shown]
.LBB0_23:
	s_or_b32 exec_lo, exec_lo, s1
	v_and_b32_e32 v12, 0xff, v56
	v_mov_b32_e32 v13, 6
	s_waitcnt lgkmcnt(0)
	s_barrier
	buffer_gl0_inv
	v_mul_lo_u16 v12, 0xcd, v12
	s_mov_b32 s0, 0x37e14327
	s_mov_b32 s1, 0x3fe948f6
	;; [unrolled: 1-line block ×4, first 2 shown]
	v_lshrrev_b16 v77, 11, v12
	s_mov_b32 s5, 0x3fac98ee
	s_mov_b32 s7, 0x3fe11646
	;; [unrolled: 1-line block ×4, first 2 shown]
	v_mul_lo_u16 v12, v77, 10
	s_mov_b32 s15, 0xbfd5d0dc
	s_mov_b32 s14, 0xb247c609
	v_sub_nc_u16 v78, v56, v12
	v_mul_u32_u24_sdwa v12, v78, v13 dst_sel:DWORD dst_unused:UNUSED_PAD src0_sel:BYTE_0 src1_sel:DWORD
	v_lshlrev_b32_e32 v32, 4, v12
	s_clause 0x5
	global_load_dwordx4 v[12:15], v32, s[12:13]
	global_load_dwordx4 v[16:19], v32, s[12:13] offset:16
	global_load_dwordx4 v[20:23], v32, s[12:13] offset:80
	;; [unrolled: 1-line block ×5, first 2 shown]
	ds_read_b128 v[36:39], v113 offset:960
	ds_read_b128 v[40:43], v113 offset:1920
	;; [unrolled: 1-line block ×6, first 2 shown]
	s_waitcnt vmcnt(5) lgkmcnt(5)
	v_mul_f64 v[65:66], v[38:39], v[14:15]
	v_mul_f64 v[14:15], v[36:37], v[14:15]
	s_waitcnt vmcnt(4) lgkmcnt(4)
	v_mul_f64 v[67:68], v[42:43], v[18:19]
	v_mul_f64 v[18:19], v[40:41], v[18:19]
	;; [unrolled: 3-line block ×6, first 2 shown]
	v_fma_f64 v[36:37], v[36:37], v[12:13], v[65:66]
	v_fma_f64 v[12:13], v[38:39], v[12:13], -v[14:15]
	v_fma_f64 v[14:15], v[40:41], v[16:17], v[67:68]
	v_fma_f64 v[16:17], v[42:43], v[16:17], -v[18:19]
	;; [unrolled: 2-line block ×6, first 2 shown]
	v_add_f64 v[34:35], v[36:37], v[18:19]
	v_add_f64 v[38:39], v[12:13], v[20:21]
	v_add_f64 v[40:41], v[14:15], v[22:23]
	v_add_f64 v[42:43], v[16:17], v[24:25]
	v_add_f64 v[22:23], v[14:15], -v[22:23]
	v_add_f64 v[16:17], v[16:17], -v[24:25]
	v_add_f64 v[44:45], v[26:27], v[30:31]
	v_add_f64 v[46:47], v[28:29], v[32:33]
	v_add_f64 v[24:25], v[30:31], -v[26:27]
	v_add_f64 v[26:27], v[32:33], -v[28:29]
	;; [unrolled: 1-line block ×4, first 2 shown]
	ds_read_b128 v[12:15], v113
	s_waitcnt lgkmcnt(0)
	s_barrier
	buffer_gl0_inv
	v_add_f64 v[18:19], v[40:41], v[34:35]
	v_add_f64 v[30:31], v[42:43], v[38:39]
	v_add_f64 v[32:33], v[34:35], -v[44:45]
	v_add_f64 v[36:37], v[38:39], -v[46:47]
	;; [unrolled: 1-line block ×10, first 2 shown]
	v_add_f64 v[22:23], v[24:25], v[22:23]
	v_add_f64 v[40:41], v[26:27], v[16:17]
	v_add_f64 v[24:25], v[28:29], -v[24:25]
	v_add_f64 v[26:27], v[20:21], -v[26:27]
	v_add_f64 v[44:45], v[44:45], v[18:19]
	v_add_f64 v[30:31], v[46:47], v[30:31]
	v_mul_f64 v[32:33], v[32:33], s[0:1]
	v_mul_f64 v[36:37], v[36:37], s[0:1]
	s_mov_b32 s0, 0x429ad128
	v_mul_f64 v[42:43], v[48:49], s[4:5]
	v_mul_f64 v[46:47], v[50:51], s[4:5]
	;; [unrolled: 1-line block ×4, first 2 shown]
	s_mov_b32 s1, 0xbfebfeb5
	s_mov_b32 s6, 0xaaaaaaaa
	v_mul_f64 v[65:66], v[61:62], s[0:1]
	v_mul_f64 v[67:68], v[63:64], s[0:1]
	s_mov_b32 s7, 0xbff2aaaa
	v_add_f64 v[16:17], v[12:13], v[44:45]
	v_add_f64 v[18:19], v[14:15], v[30:31]
	;; [unrolled: 1-line block ×4, first 2 shown]
	v_fma_f64 v[20:21], v[48:49], s[4:5], v[32:33]
	v_fma_f64 v[22:23], v[50:51], s[4:5], v[36:37]
	v_fma_f64 v[28:29], v[34:35], s[8:9], -v[42:43]
	v_fma_f64 v[40:41], v[38:39], s[8:9], -v[46:47]
	s_mov_b32 s9, 0xbfe77f67
	v_fma_f64 v[42:43], v[24:25], s[14:15], v[57:58]
	v_fma_f64 v[46:47], v[26:27], s[14:15], v[59:60]
	s_mov_b32 s15, 0x3fd5d0dc
	v_fma_f64 v[48:49], v[61:62], s[0:1], -v[57:58]
	v_fma_f64 v[50:51], v[63:64], s[0:1], -v[59:60]
	;; [unrolled: 1-line block ×6, first 2 shown]
	s_mov_b32 s0, 0x37c3f68c
	s_mov_b32 s1, 0xbfdc38aa
	v_fma_f64 v[44:45], v[44:45], s[6:7], v[16:17]
	v_fma_f64 v[30:31], v[30:31], s[6:7], v[18:19]
	;; [unrolled: 1-line block ×8, first 2 shown]
	v_cmp_gt_u32_e64 s0, 10, v56
	v_add_f64 v[48:49], v[20:21], v[44:45]
	v_add_f64 v[50:51], v[22:23], v[30:31]
	;; [unrolled: 1-line block ×6, first 2 shown]
	v_mov_b32_e32 v40, 0x460
	v_mov_b32_e32 v41, 4
	v_mul_u32_u24_sdwa v40, v77, v40 dst_sel:DWORD dst_unused:UNUSED_PAD src0_sel:WORD_0 src1_sel:DWORD
	v_lshlrev_b32_sdwa v41, v41, v78 dst_sel:DWORD dst_unused:UNUSED_PAD src0_sel:DWORD src1_sel:BYTE_0
	v_add3_u32 v40, 0, v40, v41
	v_add_f64 v[20:21], v[46:47], v[48:49]
	v_add_f64 v[22:23], v[50:51], -v[42:43]
	v_add_f64 v[24:25], v[14:15], v[57:58]
	v_add_f64 v[26:27], v[59:60], -v[12:13]
	v_add_f64 v[28:29], v[32:33], -v[38:39]
	v_add_f64 v[30:31], v[36:37], v[34:35]
	v_add_f64 v[32:33], v[38:39], v[32:33]
	v_add_f64 v[34:35], v[34:35], -v[36:37]
	v_add_f64 v[36:37], v[57:58], -v[14:15]
	v_add_f64 v[38:39], v[12:13], v[59:60]
	v_add_f64 v[12:13], v[48:49], -v[46:47]
	v_add_f64 v[14:15], v[42:43], v[50:51]
	ds_write_b128 v40, v[16:19]
	ds_write_b128 v40, v[20:23] offset:160
	ds_write_b128 v40, v[24:27] offset:320
	;; [unrolled: 1-line block ×6, first 2 shown]
	s_waitcnt lgkmcnt(0)
	s_barrier
	buffer_gl0_inv
	ds_read_b128 v[24:27], v113
	ds_read_b128 v[28:31], v113 offset:1120
	ds_read_b128 v[32:35], v113 offset:2240
	;; [unrolled: 1-line block ×5, first 2 shown]
                                        ; implicit-def: $vgpr22_vgpr23
                                        ; implicit-def: $vgpr18_vgpr19
	s_and_saveexec_b32 s1, s0
	s_cbranch_execz .LBB0_25
; %bb.24:
	ds_read_b128 v[12:15], v113 offset:960
	ds_read_b128 v[0:3], v113 offset:2080
	;; [unrolled: 1-line block ×6, first 2 shown]
.LBB0_25:
	s_or_b32 exec_lo, exec_lo, s1
	v_mul_u32_u24_e32 v48, 5, v56
	s_mov_b32 s4, 0xe8584caa
	s_mov_b32 s5, 0xbfebb67a
	;; [unrolled: 1-line block ×4, first 2 shown]
	v_lshlrev_b32_e32 v69, 4, v48
	s_clause 0x4
	global_load_dwordx4 v[48:51], v69, s[12:13] offset:992
	global_load_dwordx4 v[57:60], v69, s[12:13] offset:1024
	;; [unrolled: 1-line block ×5, first 2 shown]
	s_waitcnt vmcnt(0) lgkmcnt(0)
	s_barrier
	buffer_gl0_inv
	v_mul_f64 v[73:74], v[40:41], v[50:51]
	v_mul_f64 v[75:76], v[44:45], v[59:60]
	;; [unrolled: 1-line block ×6, first 2 shown]
	v_fma_f64 v[42:43], v[42:43], v[48:49], -v[73:74]
	v_fma_f64 v[46:47], v[46:47], v[57:58], -v[75:76]
	v_mul_f64 v[73:74], v[34:35], v[67:68]
	v_mul_f64 v[67:68], v[32:33], v[67:68]
	v_mul_f64 v[75:76], v[38:39], v[71:72]
	v_mul_f64 v[71:72], v[36:37], v[71:72]
	v_fma_f64 v[40:41], v[40:41], v[48:49], v[50:51]
	v_fma_f64 v[44:45], v[44:45], v[57:58], v[59:60]
	v_fma_f64 v[30:31], v[30:31], v[61:62], -v[77:78]
	v_fma_f64 v[28:29], v[28:29], v[61:62], v[63:64]
	v_add_f64 v[48:49], v[42:43], v[46:47]
	v_fma_f64 v[32:33], v[32:33], v[65:66], v[73:74]
	v_fma_f64 v[34:35], v[34:35], v[65:66], -v[67:68]
	v_fma_f64 v[36:37], v[36:37], v[69:70], v[75:76]
	v_fma_f64 v[38:39], v[38:39], v[69:70], -v[71:72]
	v_add_f64 v[63:64], v[42:43], -v[46:47]
	v_add_f64 v[50:51], v[40:41], v[44:45]
	v_add_f64 v[57:58], v[40:41], -v[44:45]
	v_fma_f64 v[48:49], v[48:49], -0.5, v[30:31]
	v_add_f64 v[30:31], v[30:31], v[42:43]
	v_add_f64 v[59:60], v[32:33], v[36:37]
	;; [unrolled: 1-line block ×3, first 2 shown]
	v_add_f64 v[67:68], v[34:35], -v[38:39]
	v_fma_f64 v[50:51], v[50:51], -0.5, v[28:29]
	v_add_f64 v[34:35], v[26:27], v[34:35]
	v_add_f64 v[28:29], v[28:29], v[40:41]
	v_fma_f64 v[65:66], v[57:58], s[6:7], v[48:49]
	v_fma_f64 v[48:49], v[57:58], s[4:5], v[48:49]
	v_add_f64 v[57:58], v[24:25], v[32:33]
	v_add_f64 v[32:33], v[32:33], -v[36:37]
	v_fma_f64 v[24:25], v[59:60], -0.5, v[24:25]
	v_fma_f64 v[26:27], v[61:62], -0.5, v[26:27]
	v_fma_f64 v[40:41], v[63:64], s[4:5], v[50:51]
	v_fma_f64 v[42:43], v[63:64], s[6:7], v[50:51]
	v_add_f64 v[34:35], v[34:35], v[38:39]
	v_add_f64 v[28:29], v[28:29], v[44:45]
	;; [unrolled: 1-line block ×3, first 2 shown]
	v_mul_f64 v[50:51], v[65:66], s[4:5]
	v_mul_f64 v[61:62], v[65:66], 0.5
	v_mul_f64 v[59:60], v[48:49], s[4:5]
	v_mul_f64 v[48:49], v[48:49], -0.5
	v_add_f64 v[36:37], v[57:58], v[36:37]
	v_fma_f64 v[44:45], v[67:68], s[4:5], v[24:25]
	v_fma_f64 v[57:58], v[32:33], s[6:7], v[26:27]
	;; [unrolled: 1-line block ×4, first 2 shown]
	v_add_f64 v[26:27], v[34:35], v[30:31]
	v_add_f64 v[30:31], v[34:35], -v[30:31]
	v_fma_f64 v[50:51], v[40:41], 0.5, v[50:51]
	v_fma_f64 v[61:62], v[40:41], s[6:7], v[61:62]
	v_fma_f64 v[59:60], v[42:43], -0.5, v[59:60]
	v_fma_f64 v[48:49], v[42:43], s[6:7], v[48:49]
	v_add_f64 v[24:25], v[36:37], v[28:29]
	v_add_f64 v[28:29], v[36:37], -v[28:29]
	v_add_f64 v[32:33], v[44:45], v[50:51]
	v_add_f64 v[34:35], v[57:58], v[61:62]
	;; [unrolled: 1-line block ×4, first 2 shown]
	v_add_f64 v[40:41], v[44:45], -v[50:51]
	v_add_f64 v[42:43], v[57:58], -v[61:62]
	;; [unrolled: 1-line block ×4, first 2 shown]
	ds_write_b128 v113, v[24:27]
	ds_write_b128 v113, v[28:31] offset:3360
	ds_write_b128 v113, v[32:35] offset:1120
	;; [unrolled: 1-line block ×5, first 2 shown]
	s_and_saveexec_b32 s1, s0
	s_cbranch_execz .LBB0_27
; %bb.26:
	v_add_nc_u32_e32 v24, 60, v56
	v_add_nc_u32_e32 v25, -10, v56
	v_cndmask_b32_e64 v24, v25, v24, s0
	v_mov_b32_e32 v25, 0
	v_mul_i32_i24_e32 v24, 5, v24
	v_lshlrev_b64 v[24:25], 4, v[24:25]
	v_add_co_u32 v40, s0, s12, v24
	v_add_co_ci_u32_e64 v41, s0, s13, v25, s0
	s_clause 0x4
	global_load_dwordx4 v[24:27], v[40:41], off offset:992
	global_load_dwordx4 v[28:31], v[40:41], off offset:1024
	;; [unrolled: 1-line block ×5, first 2 shown]
	s_waitcnt vmcnt(4)
	v_mul_f64 v[44:45], v[8:9], v[26:27]
	s_waitcnt vmcnt(3)
	v_mul_f64 v[46:47], v[20:21], v[30:31]
	v_mul_f64 v[26:27], v[10:11], v[26:27]
	;; [unrolled: 1-line block ×3, first 2 shown]
	s_waitcnt vmcnt(2)
	v_mul_f64 v[48:49], v[0:1], v[34:35]
	v_mul_f64 v[34:35], v[2:3], v[34:35]
	v_fma_f64 v[10:11], v[10:11], v[24:25], -v[44:45]
	v_fma_f64 v[22:23], v[22:23], v[28:29], -v[46:47]
	s_waitcnt vmcnt(1)
	v_mul_f64 v[44:45], v[4:5], v[38:39]
	s_waitcnt vmcnt(0)
	v_mul_f64 v[46:47], v[16:17], v[42:43]
	v_fma_f64 v[8:9], v[8:9], v[24:25], v[26:27]
	v_fma_f64 v[20:21], v[20:21], v[28:29], v[30:31]
	v_fma_f64 v[2:3], v[2:3], v[32:33], -v[48:49]
	v_mul_f64 v[26:27], v[6:7], v[38:39]
	v_mul_f64 v[28:29], v[18:19], v[42:43]
	v_fma_f64 v[0:1], v[0:1], v[32:33], v[34:35]
	v_add_f64 v[24:25], v[10:11], v[22:23]
	v_fma_f64 v[6:7], v[6:7], v[36:37], -v[44:45]
	v_fma_f64 v[18:19], v[18:19], v[40:41], -v[46:47]
	v_add_f64 v[30:31], v[8:9], v[20:21]
	v_add_f64 v[32:33], v[8:9], -v[20:21]
	v_fma_f64 v[4:5], v[4:5], v[36:37], v[26:27]
	v_fma_f64 v[16:17], v[16:17], v[40:41], v[28:29]
	v_add_f64 v[28:29], v[10:11], -v[22:23]
	v_fma_f64 v[24:25], v[24:25], -0.5, v[2:3]
	v_add_f64 v[38:39], v[14:15], v[6:7]
	v_add_f64 v[26:27], v[6:7], v[18:19]
	v_add_f64 v[2:3], v[2:3], v[10:11]
	v_fma_f64 v[30:31], v[30:31], -0.5, v[0:1]
	v_add_f64 v[0:1], v[0:1], v[8:9]
	v_add_f64 v[6:7], v[6:7], -v[18:19]
	v_add_f64 v[36:37], v[4:5], -v[16:17]
	v_fma_f64 v[34:35], v[32:33], s[4:5], v[24:25]
	v_fma_f64 v[24:25], v[32:33], s[6:7], v[24:25]
	v_add_f64 v[32:33], v[4:5], v[16:17]
	v_add_f64 v[4:5], v[12:13], v[4:5]
	v_fma_f64 v[8:9], v[26:27], -0.5, v[14:15]
	v_fma_f64 v[10:11], v[28:29], s[6:7], v[30:31]
	v_fma_f64 v[14:15], v[28:29], s[4:5], v[30:31]
	v_add_f64 v[18:19], v[38:39], v[18:19]
	v_add_f64 v[22:23], v[2:3], v[22:23]
	v_mul_f64 v[26:27], v[34:35], -0.5
	v_mul_f64 v[28:29], v[24:25], 0.5
	v_fma_f64 v[12:13], v[32:33], -0.5, v[12:13]
	v_mul_f64 v[24:25], v[24:25], s[4:5]
	v_mul_f64 v[30:31], v[34:35], s[4:5]
	v_add_f64 v[4:5], v[4:5], v[16:17]
	v_add_f64 v[16:17], v[0:1], v[20:21]
	v_fma_f64 v[20:21], v[36:37], s[4:5], v[8:9]
	v_fma_f64 v[8:9], v[36:37], s[6:7], v[8:9]
	v_add_f64 v[2:3], v[18:19], -v[22:23]
	v_fma_f64 v[26:27], v[10:11], s[6:7], v[26:27]
	v_fma_f64 v[28:29], v[14:15], s[6:7], v[28:29]
	;; [unrolled: 1-line block ×4, first 2 shown]
	v_fma_f64 v[24:25], v[14:15], 0.5, v[24:25]
	v_fma_f64 v[30:31], v[10:11], -0.5, v[30:31]
	v_add_f64 v[0:1], v[4:5], -v[16:17]
	v_add_f64 v[6:7], v[18:19], v[22:23]
	v_add_f64 v[4:5], v[4:5], v[16:17]
	v_add_f64 v[10:11], v[20:21], -v[26:27]
	v_add_f64 v[18:19], v[20:21], v[26:27]
	v_add_f64 v[22:23], v[8:9], v[28:29]
	v_add_f64 v[14:15], v[8:9], -v[28:29]
	v_add_f64 v[20:21], v[12:13], v[24:25]
	v_add_f64 v[16:17], v[32:33], v[30:31]
	v_add_f64 v[12:13], v[12:13], -v[24:25]
	v_add_f64 v[8:9], v[32:33], -v[30:31]
	ds_write_b128 v113, v[4:7] offset:960
	ds_write_b128 v113, v[0:3] offset:4320
	;; [unrolled: 1-line block ×6, first 2 shown]
.LBB0_27:
	s_or_b32 exec_lo, exec_lo, s1
	s_waitcnt lgkmcnt(0)
	s_barrier
	buffer_gl0_inv
	s_and_saveexec_b32 s0, vcc_lo
	s_cbranch_execz .LBB0_29
; %bb.28:
	v_mul_lo_u32 v2, s3, v54
	v_mul_lo_u32 v3, s2, v55
	v_mad_u64_u32 v[0:1], null, s2, v54, 0
	v_lshl_add_u32 v17, v56, 4, 0
	v_mov_b32_e32 v57, 0
	v_lshlrev_b64 v[8:9], 4, v[52:53]
	v_add_nc_u32_e32 v10, 60, v56
	v_add_nc_u32_e32 v12, 0x78, v56
	;; [unrolled: 1-line block ×3, first 2 shown]
	v_add3_u32 v1, v1, v3, v2
	v_mov_b32_e32 v11, v57
	v_lshlrev_b64 v[15:16], 4, v[56:57]
	v_mov_b32_e32 v25, v57
	v_lshlrev_b64 v[13:14], 4, v[0:1]
	ds_read_b128 v[0:3], v17
	ds_read_b128 v[4:7], v17 offset:960
	v_lshlrev_b64 v[24:25], 4, v[24:25]
	v_add_co_u32 v18, vcc_lo, s10, v13
	v_add_co_ci_u32_e32 v14, vcc_lo, s11, v14, vcc_lo
	v_mov_b32_e32 v13, v57
	v_add_co_u32 v30, vcc_lo, v18, v8
	v_add_co_ci_u32_e32 v31, vcc_lo, v14, v9, vcc_lo
	v_lshlrev_b64 v[8:9], 4, v[10:11]
	v_add_co_u32 v10, vcc_lo, v30, v15
	v_add_co_ci_u32_e32 v11, vcc_lo, v31, v16, vcc_lo
	v_lshlrev_b64 v[12:13], 4, v[12:13]
	v_add_co_u32 v8, vcc_lo, v30, v8
	v_add_co_ci_u32_e32 v9, vcc_lo, v31, v9, vcc_lo
	s_waitcnt lgkmcnt(1)
	global_store_dwordx4 v[10:11], v[0:3], off
	s_waitcnt lgkmcnt(0)
	global_store_dwordx4 v[8:9], v[4:7], off
	v_add_nc_u32_e32 v0, 0xb4, v56
	v_mov_b32_e32 v1, v57
	v_add_co_u32 v20, vcc_lo, v30, v12
	v_add_nc_u32_e32 v10, 0xf0, v56
	v_mov_b32_e32 v11, v57
	v_lshlrev_b64 v[8:9], 4, v[0:1]
	v_add_co_ci_u32_e32 v21, vcc_lo, v31, v13, vcc_lo
	ds_read_b128 v[0:3], v17 offset:1920
	ds_read_b128 v[4:7], v17 offset:2880
	v_lshlrev_b64 v[26:27], 4, v[10:11]
	v_add_nc_u32_e32 v56, 0x168, v56
	v_add_co_u32 v22, vcc_lo, v30, v8
	v_add_co_ci_u32_e32 v23, vcc_lo, v31, v9, vcc_lo
	ds_read_b128 v[8:11], v17 offset:3840
	ds_read_b128 v[12:15], v17 offset:4800
	;; [unrolled: 1-line block ×3, first 2 shown]
	v_add_co_u32 v26, vcc_lo, v30, v26
	v_lshlrev_b64 v[28:29], 4, v[56:57]
	v_add_co_ci_u32_e32 v27, vcc_lo, v31, v27, vcc_lo
	v_add_co_u32 v24, vcc_lo, v30, v24
	v_add_co_ci_u32_e32 v25, vcc_lo, v31, v25, vcc_lo
	v_add_co_u32 v28, vcc_lo, v30, v28
	v_add_co_ci_u32_e32 v29, vcc_lo, v31, v29, vcc_lo
	s_waitcnt lgkmcnt(4)
	global_store_dwordx4 v[20:21], v[0:3], off
	s_waitcnt lgkmcnt(3)
	global_store_dwordx4 v[22:23], v[4:7], off
	;; [unrolled: 2-line block ×5, first 2 shown]
.LBB0_29:
	s_endpgm
	.section	.rodata,"a",@progbits
	.p2align	6, 0x0
	.amdhsa_kernel fft_rtc_back_len420_factors_10_7_6_wgs_60_tpt_60_dp_op_CI_CI_unitstride_sbrr_C2R_dirReg
		.amdhsa_group_segment_fixed_size 0
		.amdhsa_private_segment_fixed_size 0
		.amdhsa_kernarg_size 104
		.amdhsa_user_sgpr_count 6
		.amdhsa_user_sgpr_private_segment_buffer 1
		.amdhsa_user_sgpr_dispatch_ptr 0
		.amdhsa_user_sgpr_queue_ptr 0
		.amdhsa_user_sgpr_kernarg_segment_ptr 1
		.amdhsa_user_sgpr_dispatch_id 0
		.amdhsa_user_sgpr_flat_scratch_init 0
		.amdhsa_user_sgpr_private_segment_size 0
		.amdhsa_wavefront_size32 1
		.amdhsa_uses_dynamic_stack 0
		.amdhsa_system_sgpr_private_segment_wavefront_offset 0
		.amdhsa_system_sgpr_workgroup_id_x 1
		.amdhsa_system_sgpr_workgroup_id_y 0
		.amdhsa_system_sgpr_workgroup_id_z 0
		.amdhsa_system_sgpr_workgroup_info 0
		.amdhsa_system_vgpr_workitem_id 0
		.amdhsa_next_free_vgpr 122
		.amdhsa_next_free_sgpr 27
		.amdhsa_reserve_vcc 1
		.amdhsa_reserve_flat_scratch 0
		.amdhsa_float_round_mode_32 0
		.amdhsa_float_round_mode_16_64 0
		.amdhsa_float_denorm_mode_32 3
		.amdhsa_float_denorm_mode_16_64 3
		.amdhsa_dx10_clamp 1
		.amdhsa_ieee_mode 1
		.amdhsa_fp16_overflow 0
		.amdhsa_workgroup_processor_mode 1
		.amdhsa_memory_ordered 1
		.amdhsa_forward_progress 0
		.amdhsa_shared_vgpr_count 0
		.amdhsa_exception_fp_ieee_invalid_op 0
		.amdhsa_exception_fp_denorm_src 0
		.amdhsa_exception_fp_ieee_div_zero 0
		.amdhsa_exception_fp_ieee_overflow 0
		.amdhsa_exception_fp_ieee_underflow 0
		.amdhsa_exception_fp_ieee_inexact 0
		.amdhsa_exception_int_div_zero 0
	.end_amdhsa_kernel
	.text
.Lfunc_end0:
	.size	fft_rtc_back_len420_factors_10_7_6_wgs_60_tpt_60_dp_op_CI_CI_unitstride_sbrr_C2R_dirReg, .Lfunc_end0-fft_rtc_back_len420_factors_10_7_6_wgs_60_tpt_60_dp_op_CI_CI_unitstride_sbrr_C2R_dirReg
                                        ; -- End function
	.section	.AMDGPU.csdata,"",@progbits
; Kernel info:
; codeLenInByte = 7328
; NumSgprs: 29
; NumVgprs: 122
; ScratchSize: 0
; MemoryBound: 0
; FloatMode: 240
; IeeeMode: 1
; LDSByteSize: 0 bytes/workgroup (compile time only)
; SGPRBlocks: 3
; VGPRBlocks: 15
; NumSGPRsForWavesPerEU: 29
; NumVGPRsForWavesPerEU: 122
; Occupancy: 8
; WaveLimiterHint : 1
; COMPUTE_PGM_RSRC2:SCRATCH_EN: 0
; COMPUTE_PGM_RSRC2:USER_SGPR: 6
; COMPUTE_PGM_RSRC2:TRAP_HANDLER: 0
; COMPUTE_PGM_RSRC2:TGID_X_EN: 1
; COMPUTE_PGM_RSRC2:TGID_Y_EN: 0
; COMPUTE_PGM_RSRC2:TGID_Z_EN: 0
; COMPUTE_PGM_RSRC2:TIDIG_COMP_CNT: 0
	.text
	.p2alignl 6, 3214868480
	.fill 48, 4, 3214868480
	.type	__hip_cuid_121369b5d6dfef17,@object ; @__hip_cuid_121369b5d6dfef17
	.section	.bss,"aw",@nobits
	.globl	__hip_cuid_121369b5d6dfef17
__hip_cuid_121369b5d6dfef17:
	.byte	0                               ; 0x0
	.size	__hip_cuid_121369b5d6dfef17, 1

	.ident	"AMD clang version 19.0.0git (https://github.com/RadeonOpenCompute/llvm-project roc-6.4.0 25133 c7fe45cf4b819c5991fe208aaa96edf142730f1d)"
	.section	".note.GNU-stack","",@progbits
	.addrsig
	.addrsig_sym __hip_cuid_121369b5d6dfef17
	.amdgpu_metadata
---
amdhsa.kernels:
  - .args:
      - .actual_access:  read_only
        .address_space:  global
        .offset:         0
        .size:           8
        .value_kind:     global_buffer
      - .offset:         8
        .size:           8
        .value_kind:     by_value
      - .actual_access:  read_only
        .address_space:  global
        .offset:         16
        .size:           8
        .value_kind:     global_buffer
      - .actual_access:  read_only
        .address_space:  global
        .offset:         24
        .size:           8
        .value_kind:     global_buffer
      - .actual_access:  read_only
        .address_space:  global
        .offset:         32
        .size:           8
        .value_kind:     global_buffer
      - .offset:         40
        .size:           8
        .value_kind:     by_value
      - .actual_access:  read_only
        .address_space:  global
        .offset:         48
        .size:           8
        .value_kind:     global_buffer
      - .actual_access:  read_only
        .address_space:  global
        .offset:         56
        .size:           8
        .value_kind:     global_buffer
      - .offset:         64
        .size:           4
        .value_kind:     by_value
      - .actual_access:  read_only
        .address_space:  global
        .offset:         72
        .size:           8
        .value_kind:     global_buffer
      - .actual_access:  read_only
        .address_space:  global
        .offset:         80
        .size:           8
        .value_kind:     global_buffer
      - .actual_access:  read_only
        .address_space:  global
        .offset:         88
        .size:           8
        .value_kind:     global_buffer
      - .actual_access:  write_only
        .address_space:  global
        .offset:         96
        .size:           8
        .value_kind:     global_buffer
    .group_segment_fixed_size: 0
    .kernarg_segment_align: 8
    .kernarg_segment_size: 104
    .language:       OpenCL C
    .language_version:
      - 2
      - 0
    .max_flat_workgroup_size: 60
    .name:           fft_rtc_back_len420_factors_10_7_6_wgs_60_tpt_60_dp_op_CI_CI_unitstride_sbrr_C2R_dirReg
    .private_segment_fixed_size: 0
    .sgpr_count:     29
    .sgpr_spill_count: 0
    .symbol:         fft_rtc_back_len420_factors_10_7_6_wgs_60_tpt_60_dp_op_CI_CI_unitstride_sbrr_C2R_dirReg.kd
    .uniform_work_group_size: 1
    .uses_dynamic_stack: false
    .vgpr_count:     122
    .vgpr_spill_count: 0
    .wavefront_size: 32
    .workgroup_processor_mode: 1
amdhsa.target:   amdgcn-amd-amdhsa--gfx1030
amdhsa.version:
  - 1
  - 2
...

	.end_amdgpu_metadata
